;; amdgpu-corpus repo=ROCm/rocFFT kind=compiled arch=gfx906 opt=O3
	.text
	.amdgcn_target "amdgcn-amd-amdhsa--gfx906"
	.amdhsa_code_object_version 6
	.protected	fft_rtc_fwd_len100_factors_10_10_wgs_190_tpt_10_dim2_dp_ip_CI_sbcc_twdbase8_2step_dirReg_intrinsicReadWrite ; -- Begin function fft_rtc_fwd_len100_factors_10_10_wgs_190_tpt_10_dim2_dp_ip_CI_sbcc_twdbase8_2step_dirReg_intrinsicReadWrite
	.globl	fft_rtc_fwd_len100_factors_10_10_wgs_190_tpt_10_dim2_dp_ip_CI_sbcc_twdbase8_2step_dirReg_intrinsicReadWrite
	.p2align	8
	.type	fft_rtc_fwd_len100_factors_10_10_wgs_190_tpt_10_dim2_dp_ip_CI_sbcc_twdbase8_2step_dirReg_intrinsicReadWrite,@function
fft_rtc_fwd_len100_factors_10_10_wgs_190_tpt_10_dim2_dp_ip_CI_sbcc_twdbase8_2step_dirReg_intrinsicReadWrite: ; @fft_rtc_fwd_len100_factors_10_10_wgs_190_tpt_10_dim2_dp_ip_CI_sbcc_twdbase8_2step_dirReg_intrinsicReadWrite
; %bb.0:
	s_load_dwordx4 s[0:3], s[4:5], 0x10
	s_mov_b32 s7, 0
	s_waitcnt lgkmcnt(0)
	s_load_dwordx2 s[10:11], s[0:1], 0x8
	s_load_dwordx2 s[14:15], s[4:5], 0x0
	;; [unrolled: 1-line block ×4, first 2 shown]
	s_waitcnt lgkmcnt(0)
	s_add_u32 s0, s10, -1
	s_addc_u32 s1, s11, -1
	s_add_u32 s13, 0, 0x50d6f500
	s_addc_u32 s16, 0, 46
	s_add_i32 s16, s16, 0xd794330
	s_mul_hi_u32 s20, s13, 0xffffffed
	s_sub_i32 s20, s20, s13
	s_mul_i32 s21, s16, 0xffffffed
	s_mul_i32 s17, s13, 0xffffffed
	s_add_i32 s20, s20, s21
	s_mul_hi_u32 s18, s16, s17
	s_mul_i32 s19, s16, s17
	s_mul_i32 s22, s13, s20
	s_mul_hi_u32 s17, s13, s17
	s_mul_hi_u32 s21, s13, s20
	s_add_u32 s17, s17, s22
	s_addc_u32 s21, 0, s21
	s_add_u32 s17, s17, s19
	s_mul_hi_u32 s22, s16, s20
	s_addc_u32 s17, s21, s18
	s_addc_u32 s18, s22, 0
	s_mul_i32 s19, s16, s20
	s_add_u32 s17, s17, s19
	v_mov_b32_e32 v1, s17
	s_addc_u32 s18, 0, s18
	v_add_co_u32_e32 v1, vcc, s13, v1
	s_cmp_lg_u64 vcc, 0
	s_addc_u32 s13, s16, s18
	v_readfirstlane_b32 s18, v1
	s_mul_i32 s17, s0, s13
	s_mul_hi_u32 s19, s0, s18
	s_mul_hi_u32 s16, s0, s13
	s_add_u32 s17, s19, s17
	s_addc_u32 s16, 0, s16
	s_mul_hi_u32 s20, s1, s18
	s_mul_i32 s18, s1, s18
	s_add_u32 s17, s17, s18
	s_mul_hi_u32 s19, s1, s13
	s_addc_u32 s16, s16, s20
	s_addc_u32 s17, s19, 0
	s_mul_i32 s13, s1, s13
	s_add_u32 s13, s16, s13
	s_addc_u32 s16, 0, s17
	s_add_u32 s17, s13, 1
	s_addc_u32 s18, s16, 0
	s_add_u32 s19, s13, 2
	s_mul_i32 s21, s16, 19
	s_mul_hi_u32 s22, s13, 19
	s_addc_u32 s20, s16, 0
	s_add_i32 s22, s22, s21
	s_mul_i32 s21, s13, 19
	v_mov_b32_e32 v1, s21
	v_sub_co_u32_e32 v1, vcc, s0, v1
	s_cmp_lg_u64 vcc, 0
	s_subb_u32 s0, s1, s22
	v_subrev_co_u32_e32 v2, vcc, 19, v1
	s_cmp_lg_u64 vcc, 0
	s_subb_u32 s1, s0, 0
	v_readfirstlane_b32 s21, v2
	s_cmp_gt_u32 s21, 18
	s_cselect_b32 s21, -1, 0
	s_cmp_eq_u32 s1, 0
	s_cselect_b32 s1, s21, -1
	s_cmp_lg_u32 s1, 0
	s_cselect_b32 s1, s19, s17
	s_cselect_b32 s17, s20, s18
	v_readfirstlane_b32 s18, v1
	s_cmp_gt_u32 s18, 18
	s_cselect_b32 s18, -1, 0
	s_cmp_eq_u32 s0, 0
	s_cselect_b32 s0, s18, -1
	s_cmp_lg_u32 s0, 0
	s_cselect_b32 s1, s1, s13
	s_cselect_b32 s0, s17, s16
	s_add_u32 s16, s1, 1
	s_addc_u32 s17, s0, 0
	v_mov_b32_e32 v1, s16
	v_mov_b32_e32 v2, s17
	v_cmp_lt_u64_e32 vcc, s[6:7], v[1:2]
	s_mov_b64 s[0:1], 0
	s_cbranch_vccnz .LBB0_2
; %bb.1:
	v_cvt_f32_u32_e32 v1, s16
	s_sub_i32 s0, 0, s16
	v_rcp_iflag_f32_e32 v1, v1
	v_mul_f32_e32 v1, 0x4f7ffffe, v1
	v_cvt_u32_f32_e32 v1, v1
	v_readfirstlane_b32 s1, v1
	s_mul_i32 s0, s0, s1
	s_mul_hi_u32 s0, s1, s0
	s_add_i32 s1, s1, s0
	s_mul_hi_u32 s0, s6, s1
	s_mul_i32 s7, s0, s16
	s_sub_i32 s7, s6, s7
	s_add_i32 s1, s0, 1
	s_sub_i32 s13, s7, s16
	s_cmp_ge_u32 s7, s16
	s_cselect_b32 s0, s1, s0
	s_cselect_b32 s7, s13, s7
	s_add_i32 s1, s0, 1
	s_cmp_ge_u32 s7, s16
	s_cselect_b32 s0, s1, s0
.LBB0_2:
	s_mul_i32 s1, s0, s17
	s_mul_hi_u32 s7, s0, s16
	s_add_i32 s7, s7, s1
	s_mul_i32 s1, s0, s16
	s_load_dwordx4 s[16:19], s[2:3], 0x8
	s_sub_u32 s1, s6, s1
	v_mul_u32_u24_e32 v1, 0xd7a, v0
	s_subb_u32 s6, 0, s7
	v_lshrrev_b32_e32 v45, 16, v1
	s_mul_i32 s6, s6, 19
	s_mul_hi_u32 s7, s1, 19
	s_mul_i32 s1, s1, 19
	v_mul_lo_u16_e32 v1, 19, v45
	s_add_i32 s6, s7, s6
	s_waitcnt lgkmcnt(0)
	s_mul_i32 s2, s1, s16
	s_mul_i32 s0, s18, s0
	v_sub_u16_e32 v46, v0, v1
	s_add_i32 s2, s0, s2
	v_add_co_u32_e32 v37, vcc, s1, v46
	v_mov_b32_e32 v1, s6
	v_add_u32_e32 v9, 40, v45
	v_add_u32_e32 v13, 60, v45
	v_addc_co_u32_e32 v38, vcc, 0, v1, vcc
	s_add_u32 s0, s1, 19
	v_mov_b32_e32 v1, s10
	v_mul_lo_u32 v44, s16, v46
	v_mul_lo_u32 v9, s12, v9
	;; [unrolled: 1-line block ×3, first 2 shown]
	s_addc_u32 s1, s6, 0
	v_mov_b32_e32 v2, s11
	v_cmp_le_u64_e32 vcc, s[0:1], v[1:2]
	v_cmp_gt_u64_e64 s[0:1], s[10:11], v[37:38]
	v_add_lshl_u32 v9, v44, v9, 4
	s_or_b64 vcc, vcc, s[0:1]
	v_add_lshl_u32 v13, v44, v13, 4
	s_lshl_b32 s13, s2, 4
	s_mov_b32 s11, 0x20000
	s_mov_b32 s10, -2
	v_cndmask_b32_e32 v9, -1, v9, vcc
	v_cndmask_b32_e32 v13, -1, v13, vcc
	buffer_load_dwordx4 v[47:50], v9, s[8:11], s13 offen
	buffer_load_dwordx4 v[51:54], v13, s[8:11], s13 offen
	v_add_u32_e32 v5, 20, v45
	v_or_b32_e32 v17, 0x50, v45
	v_mul_lo_u32 v1, s12, v45
	v_mul_lo_u32 v5, s12, v5
	;; [unrolled: 1-line block ×3, first 2 shown]
	s_mov_b32 s0, 0x134454ff
	v_add_lshl_u32 v1, v44, v1, 4
	v_add_lshl_u32 v5, v44, v5, 4
	;; [unrolled: 1-line block ×3, first 2 shown]
	v_cndmask_b32_e32 v1, -1, v1, vcc
	v_cndmask_b32_e32 v5, -1, v5, vcc
	;; [unrolled: 1-line block ×3, first 2 shown]
	buffer_load_dwordx4 v[21:24], v1, s[8:11], s13 offen
	buffer_load_dwordx4 v[40:43], v5, s[8:11], s13 offen
	;; [unrolled: 1-line block ×3, first 2 shown]
	s_mov_b32 s1, 0x3fee6f0e
	s_mov_b32 s17, 0xbfee6f0e
	s_mov_b32 s16, s0
	s_mov_b32 s2, 0x4755a5e
	s_mov_b32 s3, 0x3fe2cf23
	s_mov_b32 s19, 0xbfe2cf23
	s_mov_b32 s18, s2
	s_mov_b32 s6, 0x372fe950
	s_mov_b32 s7, 0x3fd3c6ef
	v_add_u32_e32 v9, 50, v45
	v_add_u32_e32 v13, 0x46, v45
	v_mul_lo_u32 v9, s12, v9
	v_mul_lo_u32 v13, s12, v13
	v_add_u32_e32 v1, 10, v45
	v_add_u32_e32 v5, 30, v45
	v_add_lshl_u32 v9, v44, v9, 4
	v_add_lshl_u32 v13, v44, v13, 4
	v_cndmask_b32_e32 v9, -1, v9, vcc
	v_cndmask_b32_e32 v13, -1, v13, vcc
	buffer_load_dwordx4 v[9:12], v9, s[8:11], s13 offen
	v_add_u32_e32 v17, 0x5a, v45
	buffer_load_dwordx4 v[13:16], v13, s[8:11], s13 offen
	v_mul_lo_u32 v1, s12, v1
	v_mul_lo_u32 v5, s12, v5
	v_mul_lo_u32 v17, s12, v17
	s_mov_b32 s20, 0x9b97f4a8
	v_add_lshl_u32 v1, v44, v1, 4
	v_add_lshl_u32 v5, v44, v5, 4
	;; [unrolled: 1-line block ×3, first 2 shown]
	v_cndmask_b32_e32 v1, -1, v1, vcc
	v_cndmask_b32_e32 v5, -1, v5, vcc
	;; [unrolled: 1-line block ×3, first 2 shown]
	buffer_load_dwordx4 v[1:4], v1, s[8:11], s13 offen
	s_mov_b32 s21, 0x3fe9e377
	buffer_load_dwordx4 v[5:8], v5, s[8:11], s13 offen
	s_movk_i32 s22, 0xf550
	buffer_load_dwordx4 v[17:20], v17, s[8:11], s13 offen
	s_load_dwordx2 s[4:5], s[4:5], 0x8
	v_mul_u32_u24_e32 v0, 0x159, v0
	s_waitcnt vmcnt(8)
	v_add_f64 v[27:28], v[47:48], v[51:52]
	v_add_f64 v[35:36], v[49:50], -v[53:54]
	s_waitcnt vmcnt(7)
	v_fma_f64 v[29:30], v[27:28], -0.5, v[21:22]
	s_waitcnt vmcnt(6)
	v_add_f64 v[31:32], v[40:41], -v[47:48]
	s_waitcnt vmcnt(5)
	v_add_f64 v[33:34], v[42:43], -v[57:58]
	v_add_f64 v[38:39], v[55:56], -v[51:52]
	v_add_f64 v[25:26], v[21:22], v[40:41]
	v_add_f64 v[59:60], v[51:52], -v[55:56]
	v_fma_f64 v[27:28], v[33:34], s[0:1], v[29:30]
	v_fma_f64 v[29:30], v[33:34], s[16:17], v[29:30]
	v_add_f64 v[31:32], v[31:32], v[38:39]
	v_add_f64 v[38:39], v[47:48], -v[40:41]
	v_add_f64 v[25:26], v[25:26], v[47:48]
	v_add_f64 v[47:48], v[47:48], -v[51:52]
	v_fma_f64 v[27:28], v[35:36], s[2:3], v[27:28]
	v_fma_f64 v[29:30], v[35:36], s[18:19], v[29:30]
	v_add_f64 v[38:39], v[38:39], v[59:60]
	v_add_f64 v[25:26], v[25:26], v[51:52]
	v_add_f64 v[51:52], v[57:58], -v[53:54]
	v_fma_f64 v[27:28], v[31:32], s[6:7], v[27:28]
	v_fma_f64 v[29:30], v[31:32], s[6:7], v[29:30]
	v_add_f64 v[31:32], v[40:41], v[55:56]
	v_add_f64 v[25:26], v[25:26], v[55:56]
	v_add_f64 v[55:56], v[40:41], -v[55:56]
	v_add_f64 v[40:41], v[42:43], -v[49:50]
	v_fma_f64 v[21:22], v[31:32], -0.5, v[21:22]
	s_waitcnt vmcnt(0)
	v_add_f64 v[59:60], v[13:14], -v[17:18]
	v_add_f64 v[40:41], v[40:41], v[51:52]
	v_fma_f64 v[31:32], v[35:36], s[16:17], v[21:22]
	v_fma_f64 v[21:22], v[35:36], s[0:1], v[21:22]
	;; [unrolled: 1-line block ×6, first 2 shown]
	v_add_f64 v[21:22], v[23:24], v[42:43]
	v_add_f64 v[21:22], v[21:22], v[49:50]
	;; [unrolled: 1-line block ×5, first 2 shown]
	v_fma_f64 v[21:22], v[21:22], -0.5, v[23:24]
	v_fma_f64 v[35:36], v[55:56], s[16:17], v[21:22]
	v_fma_f64 v[21:22], v[55:56], s[0:1], v[21:22]
	;; [unrolled: 1-line block ×6, first 2 shown]
	v_add_f64 v[40:41], v[42:43], v[57:58]
	v_add_f64 v[42:43], v[49:50], -v[42:43]
	v_add_f64 v[49:50], v[53:54], -v[57:58]
	;; [unrolled: 1-line block ×4, first 2 shown]
	v_fma_f64 v[23:24], v[40:41], -0.5, v[23:24]
	v_add_f64 v[42:43], v[42:43], v[49:50]
	v_add_f64 v[49:50], v[7:8], -v[19:20]
	v_fma_f64 v[40:41], v[47:48], s[0:1], v[23:24]
	v_fma_f64 v[23:24], v[47:48], s[16:17], v[23:24]
	v_add_f64 v[47:48], v[9:10], v[13:14]
	v_fma_f64 v[40:41], v[55:56], s[18:19], v[40:41]
	v_fma_f64 v[23:24], v[55:56], s[2:3], v[23:24]
	v_fma_f64 v[47:48], v[47:48], -0.5, v[1:2]
	v_add_f64 v[55:56], v[5:6], -v[9:10]
	v_fma_f64 v[40:41], v[42:43], s[6:7], v[40:41]
	v_fma_f64 v[23:24], v[42:43], s[6:7], v[23:24]
	;; [unrolled: 1-line block ×4, first 2 shown]
	v_add_f64 v[55:56], v[55:56], v[57:58]
	v_add_f64 v[42:43], v[1:2], v[5:6]
	v_add_f64 v[57:58], v[9:10], -v[5:6]
	v_fma_f64 v[51:52], v[53:54], s[2:3], v[51:52]
	v_fma_f64 v[47:48], v[53:54], s[18:19], v[47:48]
	v_add_f64 v[42:43], v[42:43], v[9:10]
	v_add_f64 v[57:58], v[57:58], v[59:60]
	v_add_f64 v[9:10], v[9:10], -v[13:14]
	v_fma_f64 v[51:52], v[55:56], s[6:7], v[51:52]
	v_fma_f64 v[47:48], v[55:56], s[6:7], v[47:48]
	v_add_f64 v[55:56], v[5:6], v[17:18]
	v_add_f64 v[42:43], v[42:43], v[13:14]
	v_add_f64 v[5:6], v[5:6], -v[17:18]
	v_fma_f64 v[1:2], v[55:56], -0.5, v[1:2]
	v_add_f64 v[42:43], v[42:43], v[17:18]
	v_fma_f64 v[55:56], v[53:54], s[16:17], v[1:2]
	v_fma_f64 v[1:2], v[53:54], s[0:1], v[1:2]
	;; [unrolled: 1-line block ×6, first 2 shown]
	v_add_f64 v[1:2], v[3:4], v[7:8]
	v_add_f64 v[57:58], v[19:20], -v[15:16]
	v_add_f64 v[1:2], v[1:2], v[11:12]
	v_add_f64 v[1:2], v[1:2], v[15:16]
	;; [unrolled: 1-line block ×4, first 2 shown]
	v_fma_f64 v[1:2], v[1:2], -0.5, v[3:4]
	v_fma_f64 v[17:18], v[5:6], s[16:17], v[1:2]
	v_fma_f64 v[1:2], v[5:6], s[0:1], v[1:2]
	;; [unrolled: 1-line block ×3, first 2 shown]
	v_add_f64 v[17:18], v[7:8], -v[11:12]
	v_fma_f64 v[1:2], v[9:10], s[2:3], v[1:2]
	v_add_f64 v[17:18], v[17:18], v[57:58]
	v_fma_f64 v[59:60], v[17:18], s[6:7], v[1:2]
	v_add_f64 v[1:2], v[7:8], v[19:20]
	v_add_f64 v[7:8], v[11:12], -v[7:8]
	v_add_f64 v[11:12], v[15:16], -v[19:20]
	v_fma_f64 v[57:58], v[17:18], s[6:7], v[13:14]
	v_mul_f64 v[19:20], v[55:56], s[16:17]
	v_fma_f64 v[1:2], v[1:2], -0.5, v[3:4]
	v_add_f64 v[7:8], v[7:8], v[11:12]
	v_fma_f64 v[3:4], v[9:10], s[0:1], v[1:2]
	v_fma_f64 v[1:2], v[9:10], s[16:17], v[1:2]
	;; [unrolled: 1-line block ×5, first 2 shown]
	v_mul_f64 v[3:4], v[57:58], s[2:3]
	v_fma_f64 v[15:16], v[7:8], s[6:7], v[1:2]
	v_mul_f64 v[7:8], v[51:52], s[18:19]
	v_add_f64 v[1:2], v[25:26], v[42:43]
	v_add_f64 v[25:26], v[25:26], -v[42:43]
	v_mul_lo_u16_e32 v42, 26, v45
	v_mov_b32_e32 v43, 10
	v_fma_f64 v[69:70], v[11:12], s[6:7], v[19:20]
	v_fma_f64 v[61:62], v[51:52], s[20:21], v[3:4]
	v_mul_f64 v[3:4], v[11:12], s[0:1]
	v_mul_f64 v[19:20], v[59:60], s[20:21]
	v_fma_f64 v[57:58], v[57:58], s[20:21], v[7:8]
	v_mul_lo_u16_sdwa v42, v42, v43 dst_sel:DWORD dst_unused:UNUSED_PAD src0_sel:BYTE_1 src1_sel:DWORD
	v_sub_u16_e32 v42, v45, v42
	v_add_f64 v[11:12], v[40:41], v[69:70]
	v_add_f64 v[5:6], v[27:28], v[61:62]
	v_fma_f64 v[63:64], v[55:56], s[6:7], v[3:4]
	v_mul_f64 v[3:4], v[49:50], s[6:7]
	v_add_f64 v[7:8], v[35:36], v[57:58]
	v_add_f64 v[9:10], v[31:32], v[63:64]
	v_fma_f64 v[65:66], v[15:16], s[0:1], -v[3:4]
	v_mul_f64 v[3:4], v[47:48], s[20:21]
	v_mul_f64 v[15:16], v[15:16], s[6:7]
	v_add_f64 v[31:32], v[31:32], -v[63:64]
	v_add_f64 v[13:14], v[33:34], v[65:66]
	v_fma_f64 v[67:68], v[59:60], s[2:3], -v[3:4]
	v_fma_f64 v[71:72], v[49:50], s[16:17], -v[15:16]
	;; [unrolled: 1-line block ×3, first 2 shown]
	v_add_f64 v[3:4], v[38:39], v[53:54]
	v_add_f64 v[49:50], v[35:36], -v[57:58]
	v_add_f64 v[47:48], v[27:28], -v[61:62]
	;; [unrolled: 1-line block ×4, first 2 shown]
	v_add_f64 v[17:18], v[29:30], v[67:68]
	v_add_f64 v[15:16], v[23:24], v[71:72]
	;; [unrolled: 1-line block ×3, first 2 shown]
	v_add_f64 v[57:58], v[21:22], -v[59:60]
	v_mul_u32_u24_e32 v21, 0xbe0, v45
	v_lshlrev_b32_e32 v22, 4, v46
	v_add3_u32 v21, 0, v21, v22
	v_mad_i32_i24 v38, v45, s22, v21
	v_and_b32_e32 v45, 0xff, v42
	v_mul_u32_u24_e32 v42, 9, v45
	v_add_f64 v[55:56], v[29:30], -v[67:68]
	v_add_f64 v[33:34], v[40:41], -v[69:70]
	;; [unrolled: 1-line block ×3, first 2 shown]
	v_lshlrev_b32_e32 v62, 4, v42
	ds_write_b128 v21, v[1:4]
	ds_write_b128 v21, v[5:8] offset:304
	ds_write_b128 v21, v[9:12] offset:608
	;; [unrolled: 1-line block ×9, first 2 shown]
	s_waitcnt lgkmcnt(0)
	s_barrier
	ds_read_b128 v[1:4], v38
	ds_read_b128 v[5:8], v38 offset:3040
	ds_read_b128 v[9:12], v38 offset:6080
	;; [unrolled: 1-line block ×9, first 2 shown]
	global_load_dwordx4 v[46:49], v62, s[14:15] offset:48
	global_load_dwordx4 v[50:53], v62, s[14:15] offset:32
	;; [unrolled: 1-line block ×3, first 2 shown]
	global_load_dwordx4 v[58:61], v62, s[14:15]
	s_waitcnt vmcnt(0) lgkmcnt(8)
	v_mul_f64 v[42:43], v[7:8], v[60:61]
	v_fma_f64 v[42:43], v[5:6], v[58:59], -v[42:43]
	v_mul_f64 v[5:6], v[5:6], v[60:61]
	v_fma_f64 v[58:59], v[7:8], v[58:59], v[5:6]
	s_waitcnt lgkmcnt(7)
	v_mul_f64 v[5:6], v[11:12], v[56:57]
	v_fma_f64 v[60:61], v[9:10], v[54:55], -v[5:6]
	v_mul_f64 v[5:6], v[9:10], v[56:57]
	v_fma_f64 v[54:55], v[11:12], v[54:55], v[5:6]
	s_waitcnt lgkmcnt(6)
	;; [unrolled: 5-line block ×3, first 2 shown]
	v_mul_f64 v[5:6], v[19:20], v[48:49]
	v_fma_f64 v[52:53], v[17:18], v[46:47], -v[5:6]
	v_mul_f64 v[5:6], v[17:18], v[48:49]
	v_fma_f64 v[46:47], v[19:20], v[46:47], v[5:6]
	global_load_dwordx4 v[5:8], v62, s[14:15] offset:112
	global_load_dwordx4 v[9:12], v62, s[14:15] offset:96
	global_load_dwordx4 v[13:16], v62, s[14:15] offset:80
	global_load_dwordx4 v[17:20], v62, s[14:15] offset:64
	s_waitcnt vmcnt(0) lgkmcnt(4)
	v_mul_f64 v[48:49], v[23:24], v[19:20]
	v_mul_f64 v[19:20], v[21:22], v[19:20]
	v_fma_f64 v[48:49], v[21:22], v[17:18], -v[48:49]
	v_fma_f64 v[17:18], v[23:24], v[17:18], v[19:20]
	s_waitcnt lgkmcnt(3)
	v_mul_f64 v[19:20], v[27:28], v[15:16]
	v_mul_f64 v[15:16], v[25:26], v[15:16]
	v_fma_f64 v[19:20], v[25:26], v[13:14], -v[19:20]
	v_fma_f64 v[13:14], v[27:28], v[13:14], v[15:16]
	s_waitcnt lgkmcnt(2)
	;; [unrolled: 5-line block ×3, first 2 shown]
	v_mul_f64 v[11:12], v[35:36], v[7:8]
	v_mul_f64 v[7:8], v[33:34], v[7:8]
	v_add_f64 v[31:32], v[46:47], -v[13:14]
	v_fma_f64 v[11:12], v[33:34], v[5:6], -v[11:12]
	v_fma_f64 v[21:22], v[35:36], v[5:6], v[7:8]
	global_load_dwordx4 v[5:8], v62, s[14:15] offset:128
	v_add_f64 v[33:34], v[60:61], -v[52:53]
	v_add_f64 v[35:36], v[11:12], -v[19:20]
	;; [unrolled: 1-line block ×3, first 2 shown]
	v_add_f64 v[33:34], v[33:34], v[35:36]
	v_add_f64 v[35:36], v[52:53], -v[60:61]
	s_waitcnt vmcnt(0) lgkmcnt(0)
	v_mul_f64 v[23:24], v[40:41], v[7:8]
	v_mul_f64 v[7:8], v[38:39], v[7:8]
	v_fma_f64 v[23:24], v[38:39], v[5:6], -v[23:24]
	v_fma_f64 v[5:6], v[40:41], v[5:6], v[7:8]
	v_add_f64 v[7:8], v[1:2], v[60:61]
	v_add_f64 v[38:39], v[19:20], -v[11:12]
	v_add_f64 v[7:8], v[7:8], v[52:53]
	v_add_f64 v[35:36], v[35:36], v[38:39]
	;; [unrolled: 1-line block ×5, first 2 shown]
	v_add_f64 v[19:20], v[52:53], -v[19:20]
	v_fma_f64 v[7:8], v[7:8], -0.5, v[1:2]
	v_fma_f64 v[29:30], v[27:28], s[0:1], v[7:8]
	v_fma_f64 v[7:8], v[27:28], s[16:17], v[7:8]
	;; [unrolled: 1-line block ×6, first 2 shown]
	v_add_f64 v[7:8], v[60:61], v[11:12]
	v_add_f64 v[11:12], v[60:61], -v[11:12]
	v_fma_f64 v[1:2], v[7:8], -0.5, v[1:2]
	v_fma_f64 v[7:8], v[31:32], s[16:17], v[1:2]
	v_fma_f64 v[1:2], v[31:32], s[0:1], v[1:2]
	v_add_f64 v[31:32], v[54:55], -v[46:47]
	v_fma_f64 v[7:8], v[27:28], s[2:3], v[7:8]
	v_fma_f64 v[1:2], v[27:28], s[18:19], v[1:2]
	;; [unrolled: 1-line block ×3, first 2 shown]
	v_add_f64 v[7:8], v[3:4], v[54:55]
	v_fma_f64 v[1:2], v[35:36], s[6:7], v[1:2]
	v_add_f64 v[35:36], v[21:22], -v[13:14]
	v_add_f64 v[7:8], v[7:8], v[46:47]
	v_add_f64 v[31:32], v[31:32], v[35:36]
	v_add_f64 v[35:36], v[15:16], -v[23:24]
	v_add_f64 v[7:8], v[7:8], v[13:14]
	v_add_f64 v[40:41], v[7:8], v[21:22]
	;; [unrolled: 1-line block ×3, first 2 shown]
	v_add_f64 v[13:14], v[13:14], -v[21:22]
	v_fma_f64 v[7:8], v[7:8], -0.5, v[3:4]
	v_fma_f64 v[27:28], v[11:12], s[16:17], v[7:8]
	v_fma_f64 v[7:8], v[11:12], s[0:1], v[7:8]
	;; [unrolled: 1-line block ×6, first 2 shown]
	v_add_f64 v[7:8], v[54:55], v[21:22]
	v_add_f64 v[27:28], v[46:47], -v[54:55]
	v_add_f64 v[21:22], v[23:24], -v[15:16]
	v_fma_f64 v[3:4], v[7:8], -0.5, v[3:4]
	v_add_f64 v[13:14], v[27:28], v[13:14]
	v_fma_f64 v[7:8], v[19:20], s[0:1], v[3:4]
	v_fma_f64 v[3:4], v[19:20], s[16:17], v[3:4]
	v_add_f64 v[19:20], v[56:57], -v[48:49]
	v_fma_f64 v[7:8], v[11:12], s[18:19], v[7:8]
	v_fma_f64 v[3:4], v[11:12], s[2:3], v[3:4]
	v_add_f64 v[19:20], v[19:20], v[21:22]
	v_fma_f64 v[46:47], v[13:14], s[6:7], v[7:8]
	v_fma_f64 v[54:55], v[13:14], s[6:7], v[3:4]
	v_add_f64 v[3:4], v[42:43], v[56:57]
	v_add_f64 v[7:8], v[50:51], -v[5:6]
	v_add_f64 v[13:14], v[17:18], -v[9:10]
	v_add_f64 v[3:4], v[3:4], v[48:49]
	v_add_f64 v[3:4], v[3:4], v[15:16]
	;; [unrolled: 1-line block ×4, first 2 shown]
	v_fma_f64 v[3:4], v[3:4], -0.5, v[42:43]
	v_fma_f64 v[11:12], v[7:8], s[0:1], v[3:4]
	v_fma_f64 v[3:4], v[7:8], s[16:17], v[3:4]
	;; [unrolled: 1-line block ×6, first 2 shown]
	v_add_f64 v[3:4], v[56:57], v[23:24]
	v_add_f64 v[19:20], v[48:49], -v[56:57]
	v_fma_f64 v[3:4], v[3:4], -0.5, v[42:43]
	v_add_f64 v[19:20], v[19:20], v[35:36]
	v_fma_f64 v[11:12], v[13:14], s[16:17], v[3:4]
	v_fma_f64 v[3:4], v[13:14], s[0:1], v[3:4]
	v_add_f64 v[13:14], v[48:49], -v[15:16]
	v_add_f64 v[15:16], v[50:51], -v[17:18]
	v_fma_f64 v[11:12], v[7:8], s[2:3], v[11:12]
	v_fma_f64 v[3:4], v[7:8], s[18:19], v[3:4]
	v_add_f64 v[7:8], v[56:57], -v[23:24]
	v_fma_f64 v[35:36], v[19:20], s[6:7], v[11:12]
	v_fma_f64 v[42:43], v[19:20], s[6:7], v[3:4]
	v_add_f64 v[3:4], v[58:59], v[50:51]
	v_add_f64 v[19:20], v[5:6], -v[9:10]
	v_add_f64 v[3:4], v[3:4], v[17:18]
	v_add_f64 v[15:16], v[15:16], v[19:20]
	;; [unrolled: 1-line block ×5, first 2 shown]
	v_fma_f64 v[3:4], v[3:4], -0.5, v[58:59]
	v_fma_f64 v[11:12], v[7:8], s[16:17], v[3:4]
	v_fma_f64 v[3:4], v[7:8], s[0:1], v[3:4]
	;; [unrolled: 1-line block ×6, first 2 shown]
	v_add_f64 v[3:4], v[50:51], v[5:6]
	v_add_f64 v[15:16], v[17:18], -v[50:51]
	v_add_f64 v[5:6], v[9:10], -v[5:6]
	v_mul_f64 v[9:10], v[21:22], s[18:19]
	v_fma_f64 v[3:4], v[3:4], -0.5, v[58:59]
	v_add_f64 v[5:6], v[15:16], v[5:6]
	v_fma_f64 v[68:69], v[23:24], s[20:21], v[9:10]
	v_fma_f64 v[11:12], v[13:14], s[0:1], v[3:4]
	;; [unrolled: 1-line block ×3, first 2 shown]
	v_mul_f64 v[13:14], v[35:36], s[16:17]
	v_add_f64 v[9:10], v[52:53], v[68:69]
	v_fma_f64 v[11:12], v[7:8], s[18:19], v[11:12]
	v_fma_f64 v[3:4], v[7:8], s[2:3], v[3:4]
	;; [unrolled: 1-line block ×4, first 2 shown]
	v_mul_f64 v[5:6], v[23:24], s[2:3]
	v_add_f64 v[3:4], v[25:26], v[27:28]
	v_add_f64 v[23:24], v[25:26], -v[27:28]
	v_add_f64 v[25:26], v[40:41], -v[62:63]
	v_fma_f64 v[70:71], v[17:18], s[6:7], v[13:14]
	v_fma_f64 v[56:57], v[21:22], s[20:21], v[5:6]
	v_mul_f64 v[5:6], v[17:18], s[0:1]
	v_mul_f64 v[17:18], v[50:51], s[6:7]
	;; [unrolled: 1-line block ×3, first 2 shown]
	v_add_f64 v[13:14], v[46:47], v[70:71]
	v_add_f64 v[7:8], v[29:30], v[56:57]
	v_fma_f64 v[58:59], v[35:36], s[6:7], v[5:6]
	v_mul_f64 v[5:6], v[42:43], s[6:7]
	v_fma_f64 v[42:43], v[42:43], s[16:17], -v[17:18]
	v_add_f64 v[27:28], v[29:30], -v[56:57]
	v_add_f64 v[29:30], v[52:53], -v[68:69]
	v_add_f64 v[11:12], v[38:39], v[58:59]
	v_fma_f64 v[64:65], v[50:51], s[0:1], -v[5:6]
	v_mul_f64 v[5:6], v[31:32], s[20:21]
	v_add_f64 v[17:18], v[54:55], v[42:43]
	v_add_f64 v[42:43], v[54:55], -v[42:43]
	s_movk_i32 s0, 0x64
	v_mul_lo_u16_sdwa v0, v0, s0 dst_sel:DWORD dst_unused:UNUSED_PAD src0_sel:WORD_1 src1_sel:DWORD
	v_add_u32_e32 v0, v45, v0
	v_add_f64 v[15:16], v[1:2], v[64:65]
	v_fma_f64 v[66:67], v[48:49], s[2:3], -v[5:6]
	v_fma_f64 v[48:49], v[31:32], s[18:19], -v[21:22]
	v_add_f64 v[35:36], v[1:2], -v[64:65]
	v_mul_lo_u32 v1, v37, v45
	v_add_f64 v[31:32], v[38:39], -v[58:59]
	v_add_f64 v[5:6], v[40:41], v[62:63]
	v_add_f64 v[19:20], v[33:34], v[66:67]
	v_add_f64 v[38:39], v[33:34], -v[66:67]
	v_add_f64 v[33:34], v[46:47], -v[70:71]
	v_mov_b32_e32 v47, 4
	v_lshlrev_b32_sdwa v2, v47, v1 dst_sel:DWORD dst_unused:UNUSED_PAD src0_sel:DWORD src1_sel:BYTE_0
	v_bfe_u32 v1, v1, 8, 8
	v_mov_b32_e32 v46, 0x1000
	v_lshl_or_b32 v1, v1, 4, v46
	v_add_f64 v[21:22], v[60:61], v[48:49]
	v_add_f64 v[40:41], v[60:61], -v[48:49]
	global_load_dwordx4 v[48:51], v2, s[4:5]
	global_load_dwordx4 v[52:55], v1, s[4:5]
	s_waitcnt vmcnt(0)
	v_mul_f64 v[1:2], v[50:51], v[54:55]
	v_fma_f64 v[56:57], v[48:49], v[52:53], -v[1:2]
	v_mul_f64 v[1:2], v[48:49], v[54:55]
	v_fma_f64 v[48:49], v[50:51], v[52:53], v[1:2]
	v_mul_f64 v[1:2], v[5:6], v[48:49]
	v_fma_f64 v[1:2], v[3:4], v[56:57], -v[1:2]
	v_mul_f64 v[3:4], v[3:4], v[48:49]
	v_fma_f64 v[3:4], v[5:6], v[56:57], v[3:4]
	v_add_u32_e32 v5, 10, v45
	v_mul_lo_u32 v5, v37, v5
	v_lshlrev_b32_sdwa v6, v47, v5 dst_sel:DWORD dst_unused:UNUSED_PAD src0_sel:DWORD src1_sel:BYTE_0
	v_bfe_u32 v5, v5, 8, 8
	v_lshl_or_b32 v5, v5, 4, v46
	global_load_dwordx4 v[48:51], v6, s[4:5]
	global_load_dwordx4 v[52:55], v5, s[4:5]
	s_waitcnt vmcnt(0)
	v_mul_f64 v[5:6], v[50:51], v[54:55]
	v_fma_f64 v[56:57], v[48:49], v[52:53], -v[5:6]
	v_mul_f64 v[5:6], v[48:49], v[54:55]
	v_fma_f64 v[48:49], v[50:51], v[52:53], v[5:6]
	v_mul_f64 v[5:6], v[9:10], v[48:49]
	v_fma_f64 v[5:6], v[7:8], v[56:57], -v[5:6]
	v_mul_f64 v[7:8], v[7:8], v[48:49]
	v_fma_f64 v[7:8], v[9:10], v[56:57], v[7:8]
	v_add_u32_e32 v9, 20, v45
	v_mul_lo_u32 v9, v37, v9
	v_lshlrev_b32_sdwa v10, v47, v9 dst_sel:DWORD dst_unused:UNUSED_PAD src0_sel:DWORD src1_sel:BYTE_0
	v_bfe_u32 v9, v9, 8, 8
	v_lshl_or_b32 v9, v9, 4, v46
	;; [unrolled: 16-line block ×7, first 2 shown]
	global_load_dwordx4 v[48:51], v30, s[4:5]
	global_load_dwordx4 v[52:55], v29, s[4:5]
	s_waitcnt vmcnt(0)
	v_mul_f64 v[29:30], v[50:51], v[54:55]
	v_fma_f64 v[56:57], v[48:49], v[52:53], -v[29:30]
	v_mul_f64 v[29:30], v[48:49], v[54:55]
	v_fma_f64 v[48:49], v[50:51], v[52:53], v[29:30]
	v_mul_f64 v[29:30], v[33:34], v[48:49]
	v_fma_f64 v[29:30], v[31:32], v[56:57], -v[29:30]
	v_mul_f64 v[31:32], v[31:32], v[48:49]
	v_fma_f64 v[31:32], v[33:34], v[56:57], v[31:32]
	v_or_b32_e32 v33, 0x50, v45
	v_mul_lo_u32 v33, v37, v33
	v_lshlrev_b32_sdwa v34, v47, v33 dst_sel:DWORD dst_unused:UNUSED_PAD src0_sel:DWORD src1_sel:BYTE_0
	v_bfe_u32 v33, v33, 8, 8
	v_lshl_or_b32 v33, v33, 4, v46
	global_load_dwordx4 v[48:51], v34, s[4:5]
	global_load_dwordx4 v[52:55], v33, s[4:5]
	s_waitcnt vmcnt(0)
	v_mul_f64 v[33:34], v[50:51], v[54:55]
	v_fma_f64 v[56:57], v[48:49], v[52:53], -v[33:34]
	v_mul_f64 v[33:34], v[48:49], v[54:55]
	v_fma_f64 v[48:49], v[50:51], v[52:53], v[33:34]
	v_mul_f64 v[33:34], v[42:43], v[48:49]
	v_fma_f64 v[33:34], v[35:36], v[56:57], -v[33:34]
	v_mul_f64 v[35:36], v[35:36], v[48:49]
	v_fma_f64 v[35:36], v[42:43], v[56:57], v[35:36]
	v_add_u32_e32 v42, 0x5a, v45
	v_mul_lo_u32 v37, v37, v42
	v_lshlrev_b32_sdwa v42, v47, v37 dst_sel:DWORD dst_unused:UNUSED_PAD src0_sel:DWORD src1_sel:BYTE_0
	v_bfe_u32 v37, v37, 8, 8
	v_lshl_or_b32 v37, v37, 4, v46
	global_load_dwordx4 v[47:50], v42, s[4:5]
	global_load_dwordx4 v[51:54], v37, s[4:5]
	s_waitcnt vmcnt(0)
	v_mul_f64 v[42:43], v[49:50], v[53:54]
	v_fma_f64 v[42:43], v[47:48], v[51:52], -v[42:43]
	v_mul_f64 v[46:47], v[47:48], v[53:54]
	v_fma_f64 v[48:49], v[49:50], v[51:52], v[46:47]
	v_mul_f64 v[46:47], v[40:41], v[48:49]
	v_fma_f64 v[46:47], v[38:39], v[42:43], -v[46:47]
	v_mul_f64 v[37:38], v[38:39], v[48:49]
	v_fma_f64 v[48:49], v[40:41], v[42:43], v[37:38]
	v_mul_lo_u32 v37, s12, v0
	v_add_lshl_u32 v37, v44, v37, 4
	v_cndmask_b32_e32 v37, -1, v37, vcc
	buffer_store_dwordx4 v[1:4], v37, s[8:11], s13 offen
	v_add_u32_e32 v1, 10, v0
	v_mul_lo_u32 v1, s12, v1
	v_add_lshl_u32 v1, v44, v1, 4
	v_cndmask_b32_e32 v1, -1, v1, vcc
	buffer_store_dwordx4 v[5:8], v1, s[8:11], s13 offen
	v_add_u32_e32 v1, 20, v0
	;; [unrolled: 5-line block ×8, first 2 shown]
	v_add_u32_e32 v0, 0x5a, v0
	v_mul_lo_u32 v1, s12, v1
	v_mul_lo_u32 v0, s12, v0
	v_add_lshl_u32 v1, v44, v1, 4
	v_add_lshl_u32 v0, v44, v0, 4
	v_cndmask_b32_e32 v1, -1, v1, vcc
	v_cndmask_b32_e32 v0, -1, v0, vcc
	buffer_store_dwordx4 v[33:36], v1, s[8:11], s13 offen
	buffer_store_dwordx4 v[46:49], v0, s[8:11], s13 offen
	s_endpgm
	.section	.rodata,"a",@progbits
	.p2align	6, 0x0
	.amdhsa_kernel fft_rtc_fwd_len100_factors_10_10_wgs_190_tpt_10_dim2_dp_ip_CI_sbcc_twdbase8_2step_dirReg_intrinsicReadWrite
		.amdhsa_group_segment_fixed_size 0
		.amdhsa_private_segment_fixed_size 0
		.amdhsa_kernarg_size 88
		.amdhsa_user_sgpr_count 6
		.amdhsa_user_sgpr_private_segment_buffer 1
		.amdhsa_user_sgpr_dispatch_ptr 0
		.amdhsa_user_sgpr_queue_ptr 0
		.amdhsa_user_sgpr_kernarg_segment_ptr 1
		.amdhsa_user_sgpr_dispatch_id 0
		.amdhsa_user_sgpr_flat_scratch_init 0
		.amdhsa_user_sgpr_private_segment_size 0
		.amdhsa_uses_dynamic_stack 0
		.amdhsa_system_sgpr_private_segment_wavefront_offset 0
		.amdhsa_system_sgpr_workgroup_id_x 1
		.amdhsa_system_sgpr_workgroup_id_y 0
		.amdhsa_system_sgpr_workgroup_id_z 0
		.amdhsa_system_sgpr_workgroup_info 0
		.amdhsa_system_vgpr_workitem_id 0
		.amdhsa_next_free_vgpr 73
		.amdhsa_next_free_sgpr 23
		.amdhsa_reserve_vcc 1
		.amdhsa_reserve_flat_scratch 0
		.amdhsa_float_round_mode_32 0
		.amdhsa_float_round_mode_16_64 0
		.amdhsa_float_denorm_mode_32 3
		.amdhsa_float_denorm_mode_16_64 3
		.amdhsa_dx10_clamp 1
		.amdhsa_ieee_mode 1
		.amdhsa_fp16_overflow 0
		.amdhsa_exception_fp_ieee_invalid_op 0
		.amdhsa_exception_fp_denorm_src 0
		.amdhsa_exception_fp_ieee_div_zero 0
		.amdhsa_exception_fp_ieee_overflow 0
		.amdhsa_exception_fp_ieee_underflow 0
		.amdhsa_exception_fp_ieee_inexact 0
		.amdhsa_exception_int_div_zero 0
	.end_amdhsa_kernel
	.text
.Lfunc_end0:
	.size	fft_rtc_fwd_len100_factors_10_10_wgs_190_tpt_10_dim2_dp_ip_CI_sbcc_twdbase8_2step_dirReg_intrinsicReadWrite, .Lfunc_end0-fft_rtc_fwd_len100_factors_10_10_wgs_190_tpt_10_dim2_dp_ip_CI_sbcc_twdbase8_2step_dirReg_intrinsicReadWrite
                                        ; -- End function
	.section	.AMDGPU.csdata,"",@progbits
; Kernel info:
; codeLenInByte = 5652
; NumSgprs: 27
; NumVgprs: 73
; ScratchSize: 0
; MemoryBound: 0
; FloatMode: 240
; IeeeMode: 1
; LDSByteSize: 0 bytes/workgroup (compile time only)
; SGPRBlocks: 3
; VGPRBlocks: 18
; NumSGPRsForWavesPerEU: 27
; NumVGPRsForWavesPerEU: 73
; Occupancy: 3
; WaveLimiterHint : 0
; COMPUTE_PGM_RSRC2:SCRATCH_EN: 0
; COMPUTE_PGM_RSRC2:USER_SGPR: 6
; COMPUTE_PGM_RSRC2:TRAP_HANDLER: 0
; COMPUTE_PGM_RSRC2:TGID_X_EN: 1
; COMPUTE_PGM_RSRC2:TGID_Y_EN: 0
; COMPUTE_PGM_RSRC2:TGID_Z_EN: 0
; COMPUTE_PGM_RSRC2:TIDIG_COMP_CNT: 0
	.type	__hip_cuid_19959ddfaa4f9f09,@object ; @__hip_cuid_19959ddfaa4f9f09
	.section	.bss,"aw",@nobits
	.globl	__hip_cuid_19959ddfaa4f9f09
__hip_cuid_19959ddfaa4f9f09:
	.byte	0                               ; 0x0
	.size	__hip_cuid_19959ddfaa4f9f09, 1

	.ident	"AMD clang version 19.0.0git (https://github.com/RadeonOpenCompute/llvm-project roc-6.4.0 25133 c7fe45cf4b819c5991fe208aaa96edf142730f1d)"
	.section	".note.GNU-stack","",@progbits
	.addrsig
	.addrsig_sym __hip_cuid_19959ddfaa4f9f09
	.amdgpu_metadata
---
amdhsa.kernels:
  - .args:
      - .actual_access:  read_only
        .address_space:  global
        .offset:         0
        .size:           8
        .value_kind:     global_buffer
      - .address_space:  global
        .offset:         8
        .size:           8
        .value_kind:     global_buffer
      - .actual_access:  read_only
        .address_space:  global
        .offset:         16
        .size:           8
        .value_kind:     global_buffer
      - .actual_access:  read_only
        .address_space:  global
        .offset:         24
        .size:           8
        .value_kind:     global_buffer
      - .offset:         32
        .size:           8
        .value_kind:     by_value
      - .actual_access:  read_only
        .address_space:  global
        .offset:         40
        .size:           8
        .value_kind:     global_buffer
      - .actual_access:  read_only
        .address_space:  global
        .offset:         48
        .size:           8
        .value_kind:     global_buffer
      - .offset:         56
        .size:           4
        .value_kind:     by_value
      - .actual_access:  read_only
        .address_space:  global
        .offset:         64
        .size:           8
        .value_kind:     global_buffer
      - .actual_access:  read_only
        .address_space:  global
        .offset:         72
        .size:           8
        .value_kind:     global_buffer
      - .address_space:  global
        .offset:         80
        .size:           8
        .value_kind:     global_buffer
    .group_segment_fixed_size: 0
    .kernarg_segment_align: 8
    .kernarg_segment_size: 88
    .language:       OpenCL C
    .language_version:
      - 2
      - 0
    .max_flat_workgroup_size: 190
    .name:           fft_rtc_fwd_len100_factors_10_10_wgs_190_tpt_10_dim2_dp_ip_CI_sbcc_twdbase8_2step_dirReg_intrinsicReadWrite
    .private_segment_fixed_size: 0
    .sgpr_count:     27
    .sgpr_spill_count: 0
    .symbol:         fft_rtc_fwd_len100_factors_10_10_wgs_190_tpt_10_dim2_dp_ip_CI_sbcc_twdbase8_2step_dirReg_intrinsicReadWrite.kd
    .uniform_work_group_size: 1
    .uses_dynamic_stack: false
    .vgpr_count:     73
    .vgpr_spill_count: 0
    .wavefront_size: 64
amdhsa.target:   amdgcn-amd-amdhsa--gfx906
amdhsa.version:
  - 1
  - 2
...

	.end_amdgpu_metadata
